;; amdgpu-corpus repo=ROCm/aiter kind=harvested arch=n/a opt=n/a

/root/src/amdgpu-assembly/repos/ROCm__aiter/hsa/gfx942/fmha_v3_bwd/bwd_hd192_dq_convert_bf16_rtna.co:	file format elf64-amdgpu

Disassembly of section .text:

0000000000002100 <_ZN5aiter35fmha_bwd_hd192_dq_convert_bf16_rtnaE>:
	s_and_b32 s1, s1, 0xffff                                   // 000000002100: 8601FF01 0000FFFF
	s_load_dwordx2 s[12:13], s[0:1], 0x0                       // 000000002108: C0060300 00000000
	s_load_dwordx2 s[16:17], s[0:1], 0x10                      // 000000002110: C0060400 00000010
	s_load_dword s6, s[0:1], 0x20                              // 000000002118: C0020180 00000020
	s_load_dword s8, s[0:1], 0x40                              // 000000002120: C0020200 00000040
	s_load_dword s9, s[0:1], 0x50                              // 000000002128: C0020240 00000050
	s_load_dword s11, s[0:1], 0x70                             // 000000002130: C00202C0 00000070
	s_load_dword s34, s[0:1], 0x90                             // 000000002138: C0020880 00000090
	s_load_dword s7, s[0:1], 0x30                              // 000000002140: C00201C0 00000030
	s_load_dword s10, s[0:1], 0x60                             // 000000002148: C0020280 00000060
	s_load_dword s35, s[0:1], 0x80                             // 000000002150: C00208C0 00000080
	v_lshrrev_b32_e32 v1, 10, v0                               // 000000002158: 2002008A
	v_lshrrev_b32_e32 v2, 10, v1                               // 00000000215C: 2004028A
	v_and_b32_e32 v2, 0x3ff, v2                                // 000000002160: 260404FF 000003FF
	v_and_b32_e32 v1, 0x3ff, v1                                // 000000002168: 260202FF 000003FF
	v_and_b32_e32 v0, 0x3ff, v0                                // 000000002170: 260000FF 000003FF
	v_lshrrev_b32_e32 v3, 6, v0                                // 000000002178: 20060086
	v_and_b32_e32 v0, 63, v0                                   // 00000000217C: 260000BF
	s_mov_b32 s2, s2                                           // 000000002180: BE820002
	s_mov_b32 s3, s3                                           // 000000002184: BE830003
	s_mov_b32 s4, s4                                           // 000000002188: BE840004
	v_readfirstlane_b32 s24, v3                                // 00000000218C: 7E300503
	s_waitcnt lgkmcnt(0)                                       // 000000002190: BF8CC07F
	s_mov_b32 s15, 0x20000                                     // 000000002194: BE8F00FF 00020000
	s_mov_b32 s19, 0x20000                                     // 00000000219C: BE9300FF 00020000
	s_and_b32 s13, s13, 0xffff                                 // 0000000021A4: 860DFF0D 0000FFFF
	s_and_b32 s17, s17, 0xffff                                 // 0000000021AC: 8611FF11 0000FFFF
	s_or_b32 s13, s13, 0x40000                                 // 0000000021B4: 870DFF0D 00040000
	s_or_b32 s17, s17, 0x40000                                 // 0000000021BC: 8711FF11 00040000
	v_mov_b32_e32 v33, 0                                       // 0000000021C4: 7E420280
	s_mov_b32 s20, s12                                         // 0000000021C8: BE94000C
	s_mov_b32 s21, s13                                         // 0000000021CC: BE95000D
	s_mov_b32 s22, s16                                         // 0000000021D0: BE960010
	s_mov_b32 s23, s17                                         // 0000000021D4: BE970011
	s_mov_b32 s38, 0x7060302                                   // 0000000021D8: BEA600FF 07060302
	s_mul_i32 s25, s8, 64                                      // 0000000021E0: 9219C008
	s_mul_i32 s25, s2, s25                                     // 0000000021E4: 92191902
	s_mul_i32 s26, s35, s8                                     // 0000000021E8: 921A0823
	s_sub_i32 s26, s26, s25                                    // 0000000021EC: 819A191A
	s_mov_b32 s14, s26                                         // 0000000021F0: BE8E001A
	s_add_u32 s12, s25, s20                                    // 0000000021F4: 800C1419
	s_addc_u32 s13, 0, s21                                     // 0000000021F8: 820D1580
	s_mul_i32 s25, s3, s6                                      // 0000000021FC: 92190603
	s_mul_hi_u32 s26, s3, s6                                   // 000000002200: 961A0603
	s_and_b32 s26, s26, 0xffff                                 // 000000002204: 861AFF1A 0000FFFF
	s_add_u32 s12, s12, s25                                    // 00000000220C: 800C190C
	s_addc_u32 s13, s13, s26                                   // 000000002210: 820D1A0D
	s_mul_i32 s25, s4, s7                                      // 000000002214: 92190704
	s_mul_hi_u32 s26, s4, s7                                   // 000000002218: 961A0704
	s_and_b32 s26, s26, 0xffff                                 // 00000000221C: 861AFF1A 0000FFFF
	s_add_u32 s12, s12, s25                                    // 000000002224: 800C190C
	s_addc_u32 s13, s13, s26                                   // 000000002228: 820D1A0D
	s_mul_i32 s25, s11, 64                                     // 00000000222C: 9219C00B
	s_mul_i32 s25, s2, s25                                     // 000000002230: 92191902
	s_mul_i32 s26, s35, s11                                    // 000000002234: 921A0B23
	s_sub_i32 s26, s26, s25                                    // 000000002238: 819A191A
	s_mov_b32 s18, s26                                         // 00000000223C: BE92001A
	s_add_u32 s16, s25, s22                                    // 000000002240: 80101619
	s_addc_u32 s17, 0, s23                                     // 000000002244: 82111780
	s_mul_i32 s25, s3, s9                                      // 000000002248: 92190903
	s_mul_hi_u32 s26, s3, s9                                   // 00000000224C: 961A0903
	s_and_b32 s26, s26, 0xffff                                 // 000000002250: 861AFF1A 0000FFFF
	s_add_u32 s16, s16, s25                                    // 000000002258: 80101910
	s_addc_u32 s17, s17, s26                                   // 00000000225C: 82111A11
	s_mul_i32 s25, s4, s10                                     // 000000002260: 92190A04
	s_mul_hi_u32 s26, s4, s10                                  // 000000002264: 961A0A04
	s_and_b32 s26, s26, 0xffff                                 // 000000002268: 861AFF1A 0000FFFF
	s_add_u32 s16, s16, s25                                    // 000000002270: 80101910
	s_addc_u32 s17, s17, s26                                   // 000000002274: 82111A11
	v_readfirstlane_b32 s24, v3                                // 000000002278: 7E300503
	v_lshrrev_b32_e32 v26, 4, v0                               // 00000000227C: 20340084
	v_mul_i32_i24_e32 v26, s8, v26                             // 000000002280: 0C343408
	v_and_b32_e32 v27, 15, v0                                  // 000000002284: 2636008F
	v_mul_i32_i24_e32 v27, 16, v27                             // 000000002288: 0C363690
	v_add_u32_e32 v27, v26, v27                                // 00000000228C: 6836371A
	v_mov_b32_e32 v4, v27                                      // 000000002290: 7E08031B
	s_mul_i32 s25, 16, s8                                      // 000000002294: 92190890
	s_mul_i32 s25, s24, s25                                    // 000000002298: 92191918
	v_add_u32_e32 v4, s25, v4                                  // 00000000229C: 68080819
	v_mov_b32_e32 v6, 0                                        // 0000000022A0: 7E0C0280
	v_lshrrev_b32_e32 v26, 5, v0                               // 0000000022A4: 20340085
	v_lshlrev_b32_e32 v26, 1, v26                              // 0000000022A8: 24343481
	v_mul_i32_i24_e32 v26, s11, v26                            // 0000000022AC: 0C34340B
	v_and_b32_e32 v27, 15, v0                                  // 0000000022B0: 2636008F
	v_lshlrev_b32_e32 v27, 3, v27                              // 0000000022B4: 24363683
	v_and_b32_e32 v28, 31, v0                                  // 0000000022B8: 2638009F
	v_lshrrev_b32_e32 v28, 4, v28                              // 0000000022BC: 20383884
	v_lshlrev_b32_e32 v28, 2, v28                              // 0000000022C0: 24383882
	v_add_u32_e32 v6, v26, v6                                  // 0000000022C4: 680C0D1A
	v_add_u32_e32 v6, v27, v6                                  // 0000000022C8: 680C0D1B
	v_add_u32_e32 v6, v28, v6                                  // 0000000022CC: 680C0D1C
	s_mul_i32 s25, 16, s11                                     // 0000000022D0: 92190B90
	s_mul_i32 s25, s24, s25                                    // 0000000022D4: 92191918
	v_add_u32_e32 v6, s25, v6                                  // 0000000022D8: 680C0C19
	v_and_b32_e32 v26, 15, v0                                  // 0000000022DC: 2634008F
	v_lshlrev_b32_e32 v26, 2, v26                              // 0000000022E0: 24343482
	s_sub_i32 s25, s34, 0x80                                   // 0000000022E4: 8199FF22 00000080
	v_cmp_lt_u32_e64 s[30:31], v26, s25                        // 0000000022EC: D0C9001E 0000331A
	v_and_b32_e32 v26, 15, v0                                  // 0000000022F4: 2634008F
	v_lshrrev_b32_e32 v26, 1, v26                              // 0000000022F8: 20343481
	v_lshlrev_b32_e32 v26, 3, v26                              // 0000000022FC: 24343483
	s_sub_i32 s25, s34, 0x80                                   // 000000002300: 8199FF22 00000080
	v_cmp_lt_u32_e64 s[32:33], v26, s25                        // 000000002308: D0C90020 0000331A
	v_mov_b32_e32 v30, 0xffff0000                              // 000000002310: 7E3C02FF FFFF0000
	v_mov_b32_e32 v31, 0x7fff0000                              // 000000002318: 7E3E02FF 7FFF0000
	v_mov_b32_e32 v32, 0x7fff                                  // 000000002320: 7E4002FF 00007FFF
	s_mul_i32 s25, s8, 0                                       // 000000002328: 92198008
	s_lshl_b32 s25, s25, 2                                     // 00000000232C: 8E198219
	v_add_u32_e32 v5, s25, v4                                  // 000000002330: 680A0819
	buffer_load_dwordx4 v[8:11], v5, s[12:15], 0 offen         // 000000002334: E05C1000 80030805
	v_add_u32_e32 v5, 0x100, v5                                // 00000000233C: 680A0AFF 00000100
	s_waitcnt vmcnt(0) expcnt(0) lgkmcnt(0)                    // 000000002344: BF8C0000
	s_barrier                                                  // 000000002348: BF8A0000
	v_cmp_u_f32_e64 s[36:37], v8, v8                           // 00000000234C: D0480024 00021108
	v_add3_u32 v29, v8, v32, 1                                 // 000000002354: D1FF001D 02064108
	v_cndmask_b32_e64 v26, v29, v31, s[36:37]                  // 00000000235C: D100001A 00923F1D
	v_cmp_u_f32_e64 s[36:37], v9, v9                           // 000000002364: D0480024 00021309
	v_add3_u32 v29, v9, v32, 1                                 // 00000000236C: D1FF001D 02064109
	v_cndmask_b32_e64 v27, v29, v31, s[36:37]                  // 000000002374: D100001B 00923F1D
	v_perm_b32 v20, v27, v26, s38                              // 00000000237C: D1ED0014 009A351B
	v_cmp_u_f32_e64 s[36:37], v10, v10                         // 000000002384: D0480024 0002150A
	v_add3_u32 v29, v10, v32, 1                                // 00000000238C: D1FF001D 0206410A
	v_cndmask_b32_e64 v26, v29, v31, s[36:37]                  // 000000002394: D100001A 00923F1D
	v_cmp_u_f32_e64 s[36:37], v11, v11                         // 00000000239C: D0480024 0002170B
	v_add3_u32 v29, v11, v32, 1                                // 0000000023A4: D1FF001D 0206410B
	v_cndmask_b32_e64 v27, v29, v31, s[36:37]                  // 0000000023AC: D100001B 00923F1D
	v_perm_b32 v21, v27, v26, s38                              // 0000000023B4: D1ED0015 009A351B
	s_nop 1                                                    // 0000000023BC: BF800001
	s_mul_i32 s25, s24, 0x100                                  // 0000000023C0: 9219FF18 00000100
	s_lshl_b32 s25, s25, 2                                     // 0000000023C8: 8E198219
	v_mov_b32_e32 v26, v0                                      // 0000000023CC: 7E340300
	v_lshlrev_b32_e32 v26, 2, v26                              // 0000000023D0: 24343482
	v_add_u32_e64 v26, v26, s25                                // 0000000023D4: D134001A 0000331A
	v_add_u32_e32 v27, 0x100, v26                              // 0000000023DC: 683634FF 00000100
	ds_write_b32 v26, v20                                      // 0000000023E4: D81A0000 0000141A
	ds_write_b32 v27, v21                                      // 0000000023EC: D81A0000 0000151B
	s_barrier                                                  // 0000000023F4: BF8A0000
	v_lshrrev_b32_e32 v26, 4, v0                               // 0000000023F8: 20340084
	v_and_b32_e64 v27, v26, 1                                  // 0000000023FC: D113001B 0001031A
	v_lshrrev_b32_e32 v28, 1, v26                              // 000000002404: 20383481
	v_lshlrev_b32_e32 v26, 1, v27                              // 000000002408: 24343681
	v_add_u32_e32 v26, v26, v28                                // 00000000240C: 6834391A
	v_lshlrev_b32_e32 v26, 7, v26                              // 000000002410: 24343487
	v_and_b32_e64 v27, v0, 15                                  // 000000002414: D113001B 00011F00
	v_lshlrev_b32_e32 v27, 2, v27                              // 00000000241C: 24363682
	v_add_u32_e32 v26, v27, v26                                // 000000002420: 6834351B
	v_add_u32_e64 v26, v26, s25                                // 000000002424: D134001A 0000331A
	v_add_u32_e32 v27, 64, v26                                 // 00000000242C: 683634C0
	ds_read_b32 v20, v26                                       // 000000002430: D86C0000 1400001A
	ds_read_b32 v21, v27                                       // 000000002438: D86C0000 1500001B
	s_barrier                                                  // 000000002440: BF8A0000
	s_nop 1                                                    // 000000002444: BF800001
	s_mul_i32 s25, s11, 0                                      // 000000002448: 9219800B
	s_lshl_b32 s25, s25, 2                                     // 00000000244C: 8E198219
	s_lshl_b32 s26, 0, 7                                       // 000000002450: 8E1A8780
	v_add_u32_e32 v7, s25, v6                                  // 000000002454: 680E0C19
	v_add_u32_e32 v7, s26, v7                                  // 000000002458: 680E0E1A
	buffer_store_dword v20, v7, s[16:19], 0 offen              // 00000000245C: E0701000 80041407
	v_add_u32_e32 v7, s11, v7                                  // 000000002464: 680E0E0B
	buffer_store_dword v21, v7, s[16:19], 0 offen              // 000000002468: E0701000 80041507
	buffer_load_dwordx4 v[12:15], v5, s[12:15], 0 offen        // 000000002470: E05C1000 80030C05
	v_add_u32_e32 v5, 0x100, v5                                // 000000002478: 680A0AFF 00000100
	s_waitcnt vmcnt(0) expcnt(0) lgkmcnt(0)                    // 000000002480: BF8C0000
	s_barrier                                                  // 000000002484: BF8A0000
	v_cmp_u_f32_e64 s[36:37], v12, v12                         // 000000002488: D0480024 0002190C
	v_add3_u32 v29, v12, v32, 1                                // 000000002490: D1FF001D 0206410C
	v_cndmask_b32_e64 v26, v29, v31, s[36:37]                  // 000000002498: D100001A 00923F1D
	v_cmp_u_f32_e64 s[36:37], v13, v13                         // 0000000024A0: D0480024 00021B0D
	v_add3_u32 v29, v13, v32, 1                                // 0000000024A8: D1FF001D 0206410D
	v_cndmask_b32_e64 v27, v29, v31, s[36:37]                  // 0000000024B0: D100001B 00923F1D
	v_perm_b32 v22, v27, v26, s38                              // 0000000024B8: D1ED0016 009A351B
	v_cmp_u_f32_e64 s[36:37], v14, v14                         // 0000000024C0: D0480024 00021D0E
	v_add3_u32 v29, v14, v32, 1                                // 0000000024C8: D1FF001D 0206410E
	v_cndmask_b32_e64 v26, v29, v31, s[36:37]                  // 0000000024D0: D100001A 00923F1D
	v_cmp_u_f32_e64 s[36:37], v15, v15                         // 0000000024D8: D0480024 00021F0F
	v_add3_u32 v29, v15, v32, 1                                // 0000000024E0: D1FF001D 0206410F
	v_cndmask_b32_e64 v27, v29, v31, s[36:37]                  // 0000000024E8: D100001B 00923F1D
	v_perm_b32 v23, v27, v26, s38                              // 0000000024F0: D1ED0017 009A351B
	s_nop 1                                                    // 0000000024F8: BF800001
	s_mul_i32 s25, s24, 0x100                                  // 0000000024FC: 9219FF18 00000100
	s_lshl_b32 s25, s25, 2                                     // 000000002504: 8E198219
	v_mov_b32_e32 v26, v0                                      // 000000002508: 7E340300
	v_lshlrev_b32_e32 v26, 2, v26                              // 00000000250C: 24343482
	v_add_u32_e64 v26, v26, s25                                // 000000002510: D134001A 0000331A
	v_add_u32_e32 v27, 0x100, v26                              // 000000002518: 683634FF 00000100
	ds_write_b32 v26, v22                                      // 000000002520: D81A0000 0000161A
	ds_write_b32 v27, v23                                      // 000000002528: D81A0000 0000171B
	s_barrier                                                  // 000000002530: BF8A0000
	v_lshrrev_b32_e32 v26, 4, v0                               // 000000002534: 20340084
	v_and_b32_e64 v27, v26, 1                                  // 000000002538: D113001B 0001031A
	v_lshrrev_b32_e32 v28, 1, v26                              // 000000002540: 20383481
	v_lshlrev_b32_e32 v26, 1, v27                              // 000000002544: 24343681
	v_add_u32_e32 v26, v26, v28                                // 000000002548: 6834391A
	v_lshlrev_b32_e32 v26, 7, v26                              // 00000000254C: 24343487
	v_and_b32_e64 v27, v0, 15                                  // 000000002550: D113001B 00011F00
	v_lshlrev_b32_e32 v27, 2, v27                              // 000000002558: 24363682
	v_add_u32_e32 v26, v27, v26                                // 00000000255C: 6834351B
	v_add_u32_e64 v26, v26, s25                                // 000000002560: D134001A 0000331A
	v_add_u32_e32 v27, 64, v26                                 // 000000002568: 683634C0
	ds_read_b32 v22, v26                                       // 00000000256C: D86C0000 1600001A
	ds_read_b32 v23, v27                                       // 000000002574: D86C0000 1700001B
	s_barrier                                                  // 00000000257C: BF8A0000
	s_nop 1                                                    // 000000002580: BF800001
	s_mul_i32 s25, s11, 0                                      // 000000002584: 9219800B
	s_lshl_b32 s25, s25, 2                                     // 000000002588: 8E198219
	s_lshl_b32 s26, 1, 7                                       // 00000000258C: 8E1A8781
	v_add_u32_e32 v7, s25, v6                                  // 000000002590: 680E0C19
	v_add_u32_e32 v7, s26, v7                                  // 000000002594: 680E0E1A
	buffer_store_dword v22, v7, s[16:19], 0 offen              // 000000002598: E0701000 80041607
	v_add_u32_e32 v7, s11, v7                                  // 0000000025A0: 680E0E0B
	buffer_store_dword v23, v7, s[16:19], 0 offen              // 0000000025A4: E0701000 80041707
	v_mov_b32_e32 v16, 0                                       // 0000000025AC: 7E200280
	v_mov_b32_e32 v17, 0                                       // 0000000025B0: 7E220280
	v_mov_b32_e32 v18, 0                                       // 0000000025B4: 7E240280
	v_mov_b32_e32 v19, 0                                       // 0000000025B8: 7E260280
	s_mov_b64 exec, s[30:31]                                   // 0000000025BC: BEFE011E
	buffer_load_dwordx4 v[16:19], v5, s[12:15], 0 offen        // 0000000025C0: E05C1000 80031005
	s_mov_b64 exec, -1                                         // 0000000025C8: BEFE01C1
	v_add_u32_e32 v5, 0x100, v5                                // 0000000025CC: 680A0AFF 00000100
	s_waitcnt vmcnt(0) expcnt(0) lgkmcnt(0)                    // 0000000025D4: BF8C0000
	s_barrier                                                  // 0000000025D8: BF8A0000
	v_cmp_u_f32_e64 s[36:37], v16, v16                         // 0000000025DC: D0480024 00022110
	v_add3_u32 v29, v16, v32, 1                                // 0000000025E4: D1FF001D 02064110
	v_cndmask_b32_e64 v26, v29, v31, s[36:37]                  // 0000000025EC: D100001A 00923F1D
	v_cmp_u_f32_e64 s[36:37], v17, v17                         // 0000000025F4: D0480024 00022311
	v_add3_u32 v29, v17, v32, 1                                // 0000000025FC: D1FF001D 02064111
	v_cndmask_b32_e64 v27, v29, v31, s[36:37]                  // 000000002604: D100001B 00923F1D
	v_perm_b32 v24, v27, v26, s38                              // 00000000260C: D1ED0018 009A351B
	v_cmp_u_f32_e64 s[36:37], v18, v18                         // 000000002614: D0480024 00022512
	v_add3_u32 v29, v18, v32, 1                                // 00000000261C: D1FF001D 02064112
	v_cndmask_b32_e64 v26, v29, v31, s[36:37]                  // 000000002624: D100001A 00923F1D
	v_cmp_u_f32_e64 s[36:37], v19, v19                         // 00000000262C: D0480024 00022713
	v_add3_u32 v29, v19, v32, 1                                // 000000002634: D1FF001D 02064113
	v_cndmask_b32_e64 v27, v29, v31, s[36:37]                  // 00000000263C: D100001B 00923F1D
	v_perm_b32 v25, v27, v26, s38                              // 000000002644: D1ED0019 009A351B
	s_nop 1                                                    // 00000000264C: BF800001
	s_mul_i32 s25, s24, 0x100                                  // 000000002650: 9219FF18 00000100
	s_lshl_b32 s25, s25, 2                                     // 000000002658: 8E198219
	v_mov_b32_e32 v26, v0                                      // 00000000265C: 7E340300
	v_lshlrev_b32_e32 v26, 2, v26                              // 000000002660: 24343482
	v_add_u32_e64 v26, v26, s25                                // 000000002664: D134001A 0000331A
	v_add_u32_e32 v27, 0x100, v26                              // 00000000266C: 683634FF 00000100
	ds_write_b32 v26, v24                                      // 000000002674: D81A0000 0000181A
	ds_write_b32 v27, v25                                      // 00000000267C: D81A0000 0000191B
	s_barrier                                                  // 000000002684: BF8A0000
	v_lshrrev_b32_e32 v26, 4, v0                               // 000000002688: 20340084
	v_and_b32_e64 v27, v26, 1                                  // 00000000268C: D113001B 0001031A
	v_lshrrev_b32_e32 v28, 1, v26                              // 000000002694: 20383481
	v_lshlrev_b32_e32 v26, 1, v27                              // 000000002698: 24343681
	v_add_u32_e32 v26, v26, v28                                // 00000000269C: 6834391A
	v_lshlrev_b32_e32 v26, 7, v26                              // 0000000026A0: 24343487
	v_and_b32_e64 v27, v0, 15                                  // 0000000026A4: D113001B 00011F00
	v_lshlrev_b32_e32 v27, 2, v27                              // 0000000026AC: 24363682
	v_add_u32_e32 v26, v27, v26                                // 0000000026B0: 6834351B
	v_add_u32_e64 v26, v26, s25                                // 0000000026B4: D134001A 0000331A
	v_add_u32_e32 v27, 64, v26                                 // 0000000026BC: 683634C0
	ds_read_b32 v24, v26                                       // 0000000026C0: D86C0000 1800001A
	ds_read_b32 v25, v27                                       // 0000000026C8: D86C0000 1900001B
	s_barrier                                                  // 0000000026D0: BF8A0000
	s_nop 1                                                    // 0000000026D4: BF800001
	s_mul_i32 s25, s11, 0                                      // 0000000026D8: 9219800B
	s_lshl_b32 s25, s25, 2                                     // 0000000026DC: 8E198219
	s_lshl_b32 s26, 2, 7                                       // 0000000026E0: 8E1A8782
	v_add_u32_e32 v7, s25, v6                                  // 0000000026E4: 680E0C19
	v_add_u32_e32 v7, s26, v7                                  // 0000000026E8: 680E0E1A
	s_mov_b64 exec, s[32:33]                                   // 0000000026EC: BEFE0120
	buffer_store_dword v24, v7, s[16:19], 0 offen              // 0000000026F0: E0701000 80041807
	v_add_u32_e32 v7, s11, v7                                  // 0000000026F8: 680E0E0B
	buffer_store_dword v25, v7, s[16:19], 0 offen              // 0000000026FC: E0701000 80041907
	s_mov_b64 exec, -1                                         // 000000002704: BEFE01C1
	s_mul_i32 s25, s8, 1                                       // 000000002708: 92198108
	s_lshl_b32 s25, s25, 2                                     // 00000000270C: 8E198219
	v_add_u32_e32 v5, s25, v4                                  // 000000002710: 680A0819
	buffer_load_dwordx4 v[8:11], v5, s[12:15], 0 offen         // 000000002714: E05C1000 80030805
	v_add_u32_e32 v5, 0x100, v5                                // 00000000271C: 680A0AFF 00000100
	s_waitcnt vmcnt(0) expcnt(0) lgkmcnt(0)                    // 000000002724: BF8C0000
	s_barrier                                                  // 000000002728: BF8A0000
	v_cmp_u_f32_e64 s[36:37], v8, v8                           // 00000000272C: D0480024 00021108
	v_add3_u32 v29, v8, v32, 1                                 // 000000002734: D1FF001D 02064108
	v_cndmask_b32_e64 v26, v29, v31, s[36:37]                  // 00000000273C: D100001A 00923F1D
	v_cmp_u_f32_e64 s[36:37], v9, v9                           // 000000002744: D0480024 00021309
	v_add3_u32 v29, v9, v32, 1                                 // 00000000274C: D1FF001D 02064109
	v_cndmask_b32_e64 v27, v29, v31, s[36:37]                  // 000000002754: D100001B 00923F1D
	v_perm_b32 v20, v27, v26, s38                              // 00000000275C: D1ED0014 009A351B
	v_cmp_u_f32_e64 s[36:37], v10, v10                         // 000000002764: D0480024 0002150A
	v_add3_u32 v29, v10, v32, 1                                // 00000000276C: D1FF001D 0206410A
	v_cndmask_b32_e64 v26, v29, v31, s[36:37]                  // 000000002774: D100001A 00923F1D
	v_cmp_u_f32_e64 s[36:37], v11, v11                         // 00000000277C: D0480024 0002170B
	v_add3_u32 v29, v11, v32, 1                                // 000000002784: D1FF001D 0206410B
	v_cndmask_b32_e64 v27, v29, v31, s[36:37]                  // 00000000278C: D100001B 00923F1D
	v_perm_b32 v21, v27, v26, s38                              // 000000002794: D1ED0015 009A351B
	s_nop 1                                                    // 00000000279C: BF800001
	s_mul_i32 s25, s24, 0x100                                  // 0000000027A0: 9219FF18 00000100
	s_lshl_b32 s25, s25, 2                                     // 0000000027A8: 8E198219
	v_mov_b32_e32 v26, v0                                      // 0000000027AC: 7E340300
	v_lshlrev_b32_e32 v26, 2, v26                              // 0000000027B0: 24343482
	v_add_u32_e64 v26, v26, s25                                // 0000000027B4: D134001A 0000331A
	v_add_u32_e32 v27, 0x100, v26                              // 0000000027BC: 683634FF 00000100
	ds_write_b32 v26, v20                                      // 0000000027C4: D81A0000 0000141A
	ds_write_b32 v27, v21                                      // 0000000027CC: D81A0000 0000151B
	s_barrier                                                  // 0000000027D4: BF8A0000
	v_lshrrev_b32_e32 v26, 4, v0                               // 0000000027D8: 20340084
	v_and_b32_e64 v27, v26, 1                                  // 0000000027DC: D113001B 0001031A
	v_lshrrev_b32_e32 v28, 1, v26                              // 0000000027E4: 20383481
	v_lshlrev_b32_e32 v26, 1, v27                              // 0000000027E8: 24343681
	v_add_u32_e32 v26, v26, v28                                // 0000000027EC: 6834391A
	v_lshlrev_b32_e32 v26, 7, v26                              // 0000000027F0: 24343487
	v_and_b32_e64 v27, v0, 15                                  // 0000000027F4: D113001B 00011F00
	v_lshlrev_b32_e32 v27, 2, v27                              // 0000000027FC: 24363682
	v_add_u32_e32 v26, v27, v26                                // 000000002800: 6834351B
	v_add_u32_e64 v26, v26, s25                                // 000000002804: D134001A 0000331A
	v_add_u32_e32 v27, 64, v26                                 // 00000000280C: 683634C0
	ds_read_b32 v20, v26                                       // 000000002810: D86C0000 1400001A
	ds_read_b32 v21, v27                                       // 000000002818: D86C0000 1500001B
	s_barrier                                                  // 000000002820: BF8A0000
	s_nop 1                                                    // 000000002824: BF800001
	s_mul_i32 s25, s11, 1                                      // 000000002828: 9219810B
	s_lshl_b32 s25, s25, 2                                     // 00000000282C: 8E198219
	s_lshl_b32 s26, 0, 7                                       // 000000002830: 8E1A8780
	v_add_u32_e32 v7, s25, v6                                  // 000000002834: 680E0C19
	v_add_u32_e32 v7, s26, v7                                  // 000000002838: 680E0E1A
	buffer_store_dword v20, v7, s[16:19], 0 offen              // 00000000283C: E0701000 80041407
	v_add_u32_e32 v7, s11, v7                                  // 000000002844: 680E0E0B
	buffer_store_dword v21, v7, s[16:19], 0 offen              // 000000002848: E0701000 80041507
	buffer_load_dwordx4 v[12:15], v5, s[12:15], 0 offen        // 000000002850: E05C1000 80030C05
	v_add_u32_e32 v5, 0x100, v5                                // 000000002858: 680A0AFF 00000100
	s_waitcnt vmcnt(0) expcnt(0) lgkmcnt(0)                    // 000000002860: BF8C0000
	s_barrier                                                  // 000000002864: BF8A0000
	v_cmp_u_f32_e64 s[36:37], v12, v12                         // 000000002868: D0480024 0002190C
	v_add3_u32 v29, v12, v32, 1                                // 000000002870: D1FF001D 0206410C
	v_cndmask_b32_e64 v26, v29, v31, s[36:37]                  // 000000002878: D100001A 00923F1D
	v_cmp_u_f32_e64 s[36:37], v13, v13                         // 000000002880: D0480024 00021B0D
	v_add3_u32 v29, v13, v32, 1                                // 000000002888: D1FF001D 0206410D
	v_cndmask_b32_e64 v27, v29, v31, s[36:37]                  // 000000002890: D100001B 00923F1D
	v_perm_b32 v22, v27, v26, s38                              // 000000002898: D1ED0016 009A351B
	v_cmp_u_f32_e64 s[36:37], v14, v14                         // 0000000028A0: D0480024 00021D0E
	v_add3_u32 v29, v14, v32, 1                                // 0000000028A8: D1FF001D 0206410E
	v_cndmask_b32_e64 v26, v29, v31, s[36:37]                  // 0000000028B0: D100001A 00923F1D
	v_cmp_u_f32_e64 s[36:37], v15, v15                         // 0000000028B8: D0480024 00021F0F
	v_add3_u32 v29, v15, v32, 1                                // 0000000028C0: D1FF001D 0206410F
	v_cndmask_b32_e64 v27, v29, v31, s[36:37]                  // 0000000028C8: D100001B 00923F1D
	v_perm_b32 v23, v27, v26, s38                              // 0000000028D0: D1ED0017 009A351B
	s_nop 1                                                    // 0000000028D8: BF800001
	s_mul_i32 s25, s24, 0x100                                  // 0000000028DC: 9219FF18 00000100
	s_lshl_b32 s25, s25, 2                                     // 0000000028E4: 8E198219
	v_mov_b32_e32 v26, v0                                      // 0000000028E8: 7E340300
	v_lshlrev_b32_e32 v26, 2, v26                              // 0000000028EC: 24343482
	v_add_u32_e64 v26, v26, s25                                // 0000000028F0: D134001A 0000331A
	v_add_u32_e32 v27, 0x100, v26                              // 0000000028F8: 683634FF 00000100
	ds_write_b32 v26, v22                                      // 000000002900: D81A0000 0000161A
	ds_write_b32 v27, v23                                      // 000000002908: D81A0000 0000171B
	s_barrier                                                  // 000000002910: BF8A0000
	v_lshrrev_b32_e32 v26, 4, v0                               // 000000002914: 20340084
	v_and_b32_e64 v27, v26, 1                                  // 000000002918: D113001B 0001031A
	v_lshrrev_b32_e32 v28, 1, v26                              // 000000002920: 20383481
	v_lshlrev_b32_e32 v26, 1, v27                              // 000000002924: 24343681
	v_add_u32_e32 v26, v26, v28                                // 000000002928: 6834391A
	v_lshlrev_b32_e32 v26, 7, v26                              // 00000000292C: 24343487
	v_and_b32_e64 v27, v0, 15                                  // 000000002930: D113001B 00011F00
	v_lshlrev_b32_e32 v27, 2, v27                              // 000000002938: 24363682
	v_add_u32_e32 v26, v27, v26                                // 00000000293C: 6834351B
	v_add_u32_e64 v26, v26, s25                                // 000000002940: D134001A 0000331A
	v_add_u32_e32 v27, 64, v26                                 // 000000002948: 683634C0
	ds_read_b32 v22, v26                                       // 00000000294C: D86C0000 1600001A
	ds_read_b32 v23, v27                                       // 000000002954: D86C0000 1700001B
	s_barrier                                                  // 00000000295C: BF8A0000
	s_nop 1                                                    // 000000002960: BF800001
	s_mul_i32 s25, s11, 1                                      // 000000002964: 9219810B
	s_lshl_b32 s25, s25, 2                                     // 000000002968: 8E198219
	s_lshl_b32 s26, 1, 7                                       // 00000000296C: 8E1A8781
	v_add_u32_e32 v7, s25, v6                                  // 000000002970: 680E0C19
	v_add_u32_e32 v7, s26, v7                                  // 000000002974: 680E0E1A
	buffer_store_dword v22, v7, s[16:19], 0 offen              // 000000002978: E0701000 80041607
	v_add_u32_e32 v7, s11, v7                                  // 000000002980: 680E0E0B
	buffer_store_dword v23, v7, s[16:19], 0 offen              // 000000002984: E0701000 80041707
	v_mov_b32_e32 v16, 0                                       // 00000000298C: 7E200280
	v_mov_b32_e32 v17, 0                                       // 000000002990: 7E220280
	v_mov_b32_e32 v18, 0                                       // 000000002994: 7E240280
	v_mov_b32_e32 v19, 0                                       // 000000002998: 7E260280
	s_mov_b64 exec, s[30:31]                                   // 00000000299C: BEFE011E
	buffer_load_dwordx4 v[16:19], v5, s[12:15], 0 offen        // 0000000029A0: E05C1000 80031005
	s_mov_b64 exec, -1                                         // 0000000029A8: BEFE01C1
	v_add_u32_e32 v5, 0x100, v5                                // 0000000029AC: 680A0AFF 00000100
	s_waitcnt vmcnt(0) expcnt(0) lgkmcnt(0)                    // 0000000029B4: BF8C0000
	s_barrier                                                  // 0000000029B8: BF8A0000
	v_cmp_u_f32_e64 s[36:37], v16, v16                         // 0000000029BC: D0480024 00022110
	v_add3_u32 v29, v16, v32, 1                                // 0000000029C4: D1FF001D 02064110
	v_cndmask_b32_e64 v26, v29, v31, s[36:37]                  // 0000000029CC: D100001A 00923F1D
	v_cmp_u_f32_e64 s[36:37], v17, v17                         // 0000000029D4: D0480024 00022311
	v_add3_u32 v29, v17, v32, 1                                // 0000000029DC: D1FF001D 02064111
	v_cndmask_b32_e64 v27, v29, v31, s[36:37]                  // 0000000029E4: D100001B 00923F1D
	v_perm_b32 v24, v27, v26, s38                              // 0000000029EC: D1ED0018 009A351B
	v_cmp_u_f32_e64 s[36:37], v18, v18                         // 0000000029F4: D0480024 00022512
	v_add3_u32 v29, v18, v32, 1                                // 0000000029FC: D1FF001D 02064112
	v_cndmask_b32_e64 v26, v29, v31, s[36:37]                  // 000000002A04: D100001A 00923F1D
	v_cmp_u_f32_e64 s[36:37], v19, v19                         // 000000002A0C: D0480024 00022713
	v_add3_u32 v29, v19, v32, 1                                // 000000002A14: D1FF001D 02064113
	v_cndmask_b32_e64 v27, v29, v31, s[36:37]                  // 000000002A1C: D100001B 00923F1D
	v_perm_b32 v25, v27, v26, s38                              // 000000002A24: D1ED0019 009A351B
	s_nop 1                                                    // 000000002A2C: BF800001
	s_mul_i32 s25, s24, 0x100                                  // 000000002A30: 9219FF18 00000100
	s_lshl_b32 s25, s25, 2                                     // 000000002A38: 8E198219
	v_mov_b32_e32 v26, v0                                      // 000000002A3C: 7E340300
	v_lshlrev_b32_e32 v26, 2, v26                              // 000000002A40: 24343482
	v_add_u32_e64 v26, v26, s25                                // 000000002A44: D134001A 0000331A
	v_add_u32_e32 v27, 0x100, v26                              // 000000002A4C: 683634FF 00000100
	ds_write_b32 v26, v24                                      // 000000002A54: D81A0000 0000181A
	ds_write_b32 v27, v25                                      // 000000002A5C: D81A0000 0000191B
	s_barrier                                                  // 000000002A64: BF8A0000
	v_lshrrev_b32_e32 v26, 4, v0                               // 000000002A68: 20340084
	v_and_b32_e64 v27, v26, 1                                  // 000000002A6C: D113001B 0001031A
	v_lshrrev_b32_e32 v28, 1, v26                              // 000000002A74: 20383481
	v_lshlrev_b32_e32 v26, 1, v27                              // 000000002A78: 24343681
	v_add_u32_e32 v26, v26, v28                                // 000000002A7C: 6834391A
	v_lshlrev_b32_e32 v26, 7, v26                              // 000000002A80: 24343487
	v_and_b32_e64 v27, v0, 15                                  // 000000002A84: D113001B 00011F00
	v_lshlrev_b32_e32 v27, 2, v27                              // 000000002A8C: 24363682
	v_add_u32_e32 v26, v27, v26                                // 000000002A90: 6834351B
	v_add_u32_e64 v26, v26, s25                                // 000000002A94: D134001A 0000331A
	v_add_u32_e32 v27, 64, v26                                 // 000000002A9C: 683634C0
	ds_read_b32 v24, v26                                       // 000000002AA0: D86C0000 1800001A
	ds_read_b32 v25, v27                                       // 000000002AA8: D86C0000 1900001B
	s_barrier                                                  // 000000002AB0: BF8A0000
	s_nop 1                                                    // 000000002AB4: BF800001
	s_mul_i32 s25, s11, 1                                      // 000000002AB8: 9219810B
	s_lshl_b32 s25, s25, 2                                     // 000000002ABC: 8E198219
	s_lshl_b32 s26, 2, 7                                       // 000000002AC0: 8E1A8782
	v_add_u32_e32 v7, s25, v6                                  // 000000002AC4: 680E0C19
	v_add_u32_e32 v7, s26, v7                                  // 000000002AC8: 680E0E1A
	s_mov_b64 exec, s[32:33]                                   // 000000002ACC: BEFE0120
	buffer_store_dword v24, v7, s[16:19], 0 offen              // 000000002AD0: E0701000 80041807
	v_add_u32_e32 v7, s11, v7                                  // 000000002AD8: 680E0E0B
	buffer_store_dword v25, v7, s[16:19], 0 offen              // 000000002ADC: E0701000 80041907
	s_mov_b64 exec, -1                                         // 000000002AE4: BEFE01C1
	s_mul_i32 s25, s8, 2                                       // 000000002AE8: 92198208
	s_lshl_b32 s25, s25, 2                                     // 000000002AEC: 8E198219
	v_add_u32_e32 v5, s25, v4                                  // 000000002AF0: 680A0819
	buffer_load_dwordx4 v[8:11], v5, s[12:15], 0 offen         // 000000002AF4: E05C1000 80030805
	v_add_u32_e32 v5, 0x100, v5                                // 000000002AFC: 680A0AFF 00000100
	s_waitcnt vmcnt(0) expcnt(0) lgkmcnt(0)                    // 000000002B04: BF8C0000
	s_barrier                                                  // 000000002B08: BF8A0000
	v_cmp_u_f32_e64 s[36:37], v8, v8                           // 000000002B0C: D0480024 00021108
	v_add3_u32 v29, v8, v32, 1                                 // 000000002B14: D1FF001D 02064108
	v_cndmask_b32_e64 v26, v29, v31, s[36:37]                  // 000000002B1C: D100001A 00923F1D
	v_cmp_u_f32_e64 s[36:37], v9, v9                           // 000000002B24: D0480024 00021309
	v_add3_u32 v29, v9, v32, 1                                 // 000000002B2C: D1FF001D 02064109
	v_cndmask_b32_e64 v27, v29, v31, s[36:37]                  // 000000002B34: D100001B 00923F1D
	v_perm_b32 v20, v27, v26, s38                              // 000000002B3C: D1ED0014 009A351B
	v_cmp_u_f32_e64 s[36:37], v10, v10                         // 000000002B44: D0480024 0002150A
	v_add3_u32 v29, v10, v32, 1                                // 000000002B4C: D1FF001D 0206410A
	v_cndmask_b32_e64 v26, v29, v31, s[36:37]                  // 000000002B54: D100001A 00923F1D
	v_cmp_u_f32_e64 s[36:37], v11, v11                         // 000000002B5C: D0480024 0002170B
	v_add3_u32 v29, v11, v32, 1                                // 000000002B64: D1FF001D 0206410B
	v_cndmask_b32_e64 v27, v29, v31, s[36:37]                  // 000000002B6C: D100001B 00923F1D
	v_perm_b32 v21, v27, v26, s38                              // 000000002B74: D1ED0015 009A351B
	s_nop 1                                                    // 000000002B7C: BF800001
	s_mul_i32 s25, s24, 0x100                                  // 000000002B80: 9219FF18 00000100
	s_lshl_b32 s25, s25, 2                                     // 000000002B88: 8E198219
	v_mov_b32_e32 v26, v0                                      // 000000002B8C: 7E340300
	v_lshlrev_b32_e32 v26, 2, v26                              // 000000002B90: 24343482
	v_add_u32_e64 v26, v26, s25                                // 000000002B94: D134001A 0000331A
	v_add_u32_e32 v27, 0x100, v26                              // 000000002B9C: 683634FF 00000100
	ds_write_b32 v26, v20                                      // 000000002BA4: D81A0000 0000141A
	ds_write_b32 v27, v21                                      // 000000002BAC: D81A0000 0000151B
	s_barrier                                                  // 000000002BB4: BF8A0000
	v_lshrrev_b32_e32 v26, 4, v0                               // 000000002BB8: 20340084
	v_and_b32_e64 v27, v26, 1                                  // 000000002BBC: D113001B 0001031A
	v_lshrrev_b32_e32 v28, 1, v26                              // 000000002BC4: 20383481
	v_lshlrev_b32_e32 v26, 1, v27                              // 000000002BC8: 24343681
	v_add_u32_e32 v26, v26, v28                                // 000000002BCC: 6834391A
	v_lshlrev_b32_e32 v26, 7, v26                              // 000000002BD0: 24343487
	v_and_b32_e64 v27, v0, 15                                  // 000000002BD4: D113001B 00011F00
	v_lshlrev_b32_e32 v27, 2, v27                              // 000000002BDC: 24363682
	v_add_u32_e32 v26, v27, v26                                // 000000002BE0: 6834351B
	v_add_u32_e64 v26, v26, s25                                // 000000002BE4: D134001A 0000331A
	v_add_u32_e32 v27, 64, v26                                 // 000000002BEC: 683634C0
	ds_read_b32 v20, v26                                       // 000000002BF0: D86C0000 1400001A
	ds_read_b32 v21, v27                                       // 000000002BF8: D86C0000 1500001B
	s_barrier                                                  // 000000002C00: BF8A0000
	s_nop 1                                                    // 000000002C04: BF800001
	s_mul_i32 s25, s11, 2                                      // 000000002C08: 9219820B
	s_lshl_b32 s25, s25, 2                                     // 000000002C0C: 8E198219
	s_lshl_b32 s26, 0, 7                                       // 000000002C10: 8E1A8780
	v_add_u32_e32 v7, s25, v6                                  // 000000002C14: 680E0C19
	v_add_u32_e32 v7, s26, v7                                  // 000000002C18: 680E0E1A
	buffer_store_dword v20, v7, s[16:19], 0 offen              // 000000002C1C: E0701000 80041407
	v_add_u32_e32 v7, s11, v7                                  // 000000002C24: 680E0E0B
	buffer_store_dword v21, v7, s[16:19], 0 offen              // 000000002C28: E0701000 80041507
	buffer_load_dwordx4 v[12:15], v5, s[12:15], 0 offen        // 000000002C30: E05C1000 80030C05
	v_add_u32_e32 v5, 0x100, v5                                // 000000002C38: 680A0AFF 00000100
	s_waitcnt vmcnt(0) expcnt(0) lgkmcnt(0)                    // 000000002C40: BF8C0000
	s_barrier                                                  // 000000002C44: BF8A0000
	v_cmp_u_f32_e64 s[36:37], v12, v12                         // 000000002C48: D0480024 0002190C
	v_add3_u32 v29, v12, v32, 1                                // 000000002C50: D1FF001D 0206410C
	v_cndmask_b32_e64 v26, v29, v31, s[36:37]                  // 000000002C58: D100001A 00923F1D
	v_cmp_u_f32_e64 s[36:37], v13, v13                         // 000000002C60: D0480024 00021B0D
	v_add3_u32 v29, v13, v32, 1                                // 000000002C68: D1FF001D 0206410D
	v_cndmask_b32_e64 v27, v29, v31, s[36:37]                  // 000000002C70: D100001B 00923F1D
	v_perm_b32 v22, v27, v26, s38                              // 000000002C78: D1ED0016 009A351B
	v_cmp_u_f32_e64 s[36:37], v14, v14                         // 000000002C80: D0480024 00021D0E
	v_add3_u32 v29, v14, v32, 1                                // 000000002C88: D1FF001D 0206410E
	v_cndmask_b32_e64 v26, v29, v31, s[36:37]                  // 000000002C90: D100001A 00923F1D
	v_cmp_u_f32_e64 s[36:37], v15, v15                         // 000000002C98: D0480024 00021F0F
	v_add3_u32 v29, v15, v32, 1                                // 000000002CA0: D1FF001D 0206410F
	v_cndmask_b32_e64 v27, v29, v31, s[36:37]                  // 000000002CA8: D100001B 00923F1D
	v_perm_b32 v23, v27, v26, s38                              // 000000002CB0: D1ED0017 009A351B
	s_nop 1                                                    // 000000002CB8: BF800001
	s_mul_i32 s25, s24, 0x100                                  // 000000002CBC: 9219FF18 00000100
	s_lshl_b32 s25, s25, 2                                     // 000000002CC4: 8E198219
	v_mov_b32_e32 v26, v0                                      // 000000002CC8: 7E340300
	v_lshlrev_b32_e32 v26, 2, v26                              // 000000002CCC: 24343482
	v_add_u32_e64 v26, v26, s25                                // 000000002CD0: D134001A 0000331A
	v_add_u32_e32 v27, 0x100, v26                              // 000000002CD8: 683634FF 00000100
	ds_write_b32 v26, v22                                      // 000000002CE0: D81A0000 0000161A
	ds_write_b32 v27, v23                                      // 000000002CE8: D81A0000 0000171B
	s_barrier                                                  // 000000002CF0: BF8A0000
	v_lshrrev_b32_e32 v26, 4, v0                               // 000000002CF4: 20340084
	v_and_b32_e64 v27, v26, 1                                  // 000000002CF8: D113001B 0001031A
	v_lshrrev_b32_e32 v28, 1, v26                              // 000000002D00: 20383481
	v_lshlrev_b32_e32 v26, 1, v27                              // 000000002D04: 24343681
	v_add_u32_e32 v26, v26, v28                                // 000000002D08: 6834391A
	v_lshlrev_b32_e32 v26, 7, v26                              // 000000002D0C: 24343487
	v_and_b32_e64 v27, v0, 15                                  // 000000002D10: D113001B 00011F00
	v_lshlrev_b32_e32 v27, 2, v27                              // 000000002D18: 24363682
	v_add_u32_e32 v26, v27, v26                                // 000000002D1C: 6834351B
	v_add_u32_e64 v26, v26, s25                                // 000000002D20: D134001A 0000331A
	v_add_u32_e32 v27, 64, v26                                 // 000000002D28: 683634C0
	ds_read_b32 v22, v26                                       // 000000002D2C: D86C0000 1600001A
	ds_read_b32 v23, v27                                       // 000000002D34: D86C0000 1700001B
	s_barrier                                                  // 000000002D3C: BF8A0000
	s_nop 1                                                    // 000000002D40: BF800001
	s_mul_i32 s25, s11, 2                                      // 000000002D44: 9219820B
	s_lshl_b32 s25, s25, 2                                     // 000000002D48: 8E198219
	s_lshl_b32 s26, 1, 7                                       // 000000002D4C: 8E1A8781
	v_add_u32_e32 v7, s25, v6                                  // 000000002D50: 680E0C19
	v_add_u32_e32 v7, s26, v7                                  // 000000002D54: 680E0E1A
	buffer_store_dword v22, v7, s[16:19], 0 offen              // 000000002D58: E0701000 80041607
	v_add_u32_e32 v7, s11, v7                                  // 000000002D60: 680E0E0B
	buffer_store_dword v23, v7, s[16:19], 0 offen              // 000000002D64: E0701000 80041707
	v_mov_b32_e32 v16, 0                                       // 000000002D6C: 7E200280
	v_mov_b32_e32 v17, 0                                       // 000000002D70: 7E220280
	v_mov_b32_e32 v18, 0                                       // 000000002D74: 7E240280
	v_mov_b32_e32 v19, 0                                       // 000000002D78: 7E260280
	s_mov_b64 exec, s[30:31]                                   // 000000002D7C: BEFE011E
	buffer_load_dwordx4 v[16:19], v5, s[12:15], 0 offen        // 000000002D80: E05C1000 80031005
	s_mov_b64 exec, -1                                         // 000000002D88: BEFE01C1
	v_add_u32_e32 v5, 0x100, v5                                // 000000002D8C: 680A0AFF 00000100
	s_waitcnt vmcnt(0) expcnt(0) lgkmcnt(0)                    // 000000002D94: BF8C0000
	s_barrier                                                  // 000000002D98: BF8A0000
	v_cmp_u_f32_e64 s[36:37], v16, v16                         // 000000002D9C: D0480024 00022110
	v_add3_u32 v29, v16, v32, 1                                // 000000002DA4: D1FF001D 02064110
	v_cndmask_b32_e64 v26, v29, v31, s[36:37]                  // 000000002DAC: D100001A 00923F1D
	v_cmp_u_f32_e64 s[36:37], v17, v17                         // 000000002DB4: D0480024 00022311
	v_add3_u32 v29, v17, v32, 1                                // 000000002DBC: D1FF001D 02064111
	v_cndmask_b32_e64 v27, v29, v31, s[36:37]                  // 000000002DC4: D100001B 00923F1D
	v_perm_b32 v24, v27, v26, s38                              // 000000002DCC: D1ED0018 009A351B
	v_cmp_u_f32_e64 s[36:37], v18, v18                         // 000000002DD4: D0480024 00022512
	v_add3_u32 v29, v18, v32, 1                                // 000000002DDC: D1FF001D 02064112
	v_cndmask_b32_e64 v26, v29, v31, s[36:37]                  // 000000002DE4: D100001A 00923F1D
	v_cmp_u_f32_e64 s[36:37], v19, v19                         // 000000002DEC: D0480024 00022713
	v_add3_u32 v29, v19, v32, 1                                // 000000002DF4: D1FF001D 02064113
	v_cndmask_b32_e64 v27, v29, v31, s[36:37]                  // 000000002DFC: D100001B 00923F1D
	v_perm_b32 v25, v27, v26, s38                              // 000000002E04: D1ED0019 009A351B
	s_nop 1                                                    // 000000002E0C: BF800001
	s_mul_i32 s25, s24, 0x100                                  // 000000002E10: 9219FF18 00000100
	s_lshl_b32 s25, s25, 2                                     // 000000002E18: 8E198219
	v_mov_b32_e32 v26, v0                                      // 000000002E1C: 7E340300
	v_lshlrev_b32_e32 v26, 2, v26                              // 000000002E20: 24343482
	v_add_u32_e64 v26, v26, s25                                // 000000002E24: D134001A 0000331A
	v_add_u32_e32 v27, 0x100, v26                              // 000000002E2C: 683634FF 00000100
	ds_write_b32 v26, v24                                      // 000000002E34: D81A0000 0000181A
	ds_write_b32 v27, v25                                      // 000000002E3C: D81A0000 0000191B
	s_barrier                                                  // 000000002E44: BF8A0000
	v_lshrrev_b32_e32 v26, 4, v0                               // 000000002E48: 20340084
	v_and_b32_e64 v27, v26, 1                                  // 000000002E4C: D113001B 0001031A
	v_lshrrev_b32_e32 v28, 1, v26                              // 000000002E54: 20383481
	v_lshlrev_b32_e32 v26, 1, v27                              // 000000002E58: 24343681
	v_add_u32_e32 v26, v26, v28                                // 000000002E5C: 6834391A
	v_lshlrev_b32_e32 v26, 7, v26                              // 000000002E60: 24343487
	v_and_b32_e64 v27, v0, 15                                  // 000000002E64: D113001B 00011F00
	v_lshlrev_b32_e32 v27, 2, v27                              // 000000002E6C: 24363682
	v_add_u32_e32 v26, v27, v26                                // 000000002E70: 6834351B
	v_add_u32_e64 v26, v26, s25                                // 000000002E74: D134001A 0000331A
	v_add_u32_e32 v27, 64, v26                                 // 000000002E7C: 683634C0
	ds_read_b32 v24, v26                                       // 000000002E80: D86C0000 1800001A
	ds_read_b32 v25, v27                                       // 000000002E88: D86C0000 1900001B
	s_barrier                                                  // 000000002E90: BF8A0000
	s_nop 1                                                    // 000000002E94: BF800001
	s_mul_i32 s25, s11, 2                                      // 000000002E98: 9219820B
	s_lshl_b32 s25, s25, 2                                     // 000000002E9C: 8E198219
	s_lshl_b32 s26, 2, 7                                       // 000000002EA0: 8E1A8782
	v_add_u32_e32 v7, s25, v6                                  // 000000002EA4: 680E0C19
	v_add_u32_e32 v7, s26, v7                                  // 000000002EA8: 680E0E1A
	s_mov_b64 exec, s[32:33]                                   // 000000002EAC: BEFE0120
	buffer_store_dword v24, v7, s[16:19], 0 offen              // 000000002EB0: E0701000 80041807
	v_add_u32_e32 v7, s11, v7                                  // 000000002EB8: 680E0E0B
	buffer_store_dword v25, v7, s[16:19], 0 offen              // 000000002EBC: E0701000 80041907
	s_mov_b64 exec, -1                                         // 000000002EC4: BEFE01C1
	s_mul_i32 s25, s8, 3                                       // 000000002EC8: 92198308
	s_lshl_b32 s25, s25, 2                                     // 000000002ECC: 8E198219
	v_add_u32_e32 v5, s25, v4                                  // 000000002ED0: 680A0819
	buffer_load_dwordx4 v[8:11], v5, s[12:15], 0 offen         // 000000002ED4: E05C1000 80030805
	v_add_u32_e32 v5, 0x100, v5                                // 000000002EDC: 680A0AFF 00000100
	s_waitcnt vmcnt(0) expcnt(0) lgkmcnt(0)                    // 000000002EE4: BF8C0000
	s_barrier                                                  // 000000002EE8: BF8A0000
	v_cmp_u_f32_e64 s[36:37], v8, v8                           // 000000002EEC: D0480024 00021108
	v_add3_u32 v29, v8, v32, 1                                 // 000000002EF4: D1FF001D 02064108
	v_cndmask_b32_e64 v26, v29, v31, s[36:37]                  // 000000002EFC: D100001A 00923F1D
	v_cmp_u_f32_e64 s[36:37], v9, v9                           // 000000002F04: D0480024 00021309
	v_add3_u32 v29, v9, v32, 1                                 // 000000002F0C: D1FF001D 02064109
	v_cndmask_b32_e64 v27, v29, v31, s[36:37]                  // 000000002F14: D100001B 00923F1D
	v_perm_b32 v20, v27, v26, s38                              // 000000002F1C: D1ED0014 009A351B
	v_cmp_u_f32_e64 s[36:37], v10, v10                         // 000000002F24: D0480024 0002150A
	v_add3_u32 v29, v10, v32, 1                                // 000000002F2C: D1FF001D 0206410A
	v_cndmask_b32_e64 v26, v29, v31, s[36:37]                  // 000000002F34: D100001A 00923F1D
	v_cmp_u_f32_e64 s[36:37], v11, v11                         // 000000002F3C: D0480024 0002170B
	v_add3_u32 v29, v11, v32, 1                                // 000000002F44: D1FF001D 0206410B
	v_cndmask_b32_e64 v27, v29, v31, s[36:37]                  // 000000002F4C: D100001B 00923F1D
	v_perm_b32 v21, v27, v26, s38                              // 000000002F54: D1ED0015 009A351B
	s_nop 1                                                    // 000000002F5C: BF800001
	s_mul_i32 s25, s24, 0x100                                  // 000000002F60: 9219FF18 00000100
	s_lshl_b32 s25, s25, 2                                     // 000000002F68: 8E198219
	v_mov_b32_e32 v26, v0                                      // 000000002F6C: 7E340300
	v_lshlrev_b32_e32 v26, 2, v26                              // 000000002F70: 24343482
	v_add_u32_e64 v26, v26, s25                                // 000000002F74: D134001A 0000331A
	v_add_u32_e32 v27, 0x100, v26                              // 000000002F7C: 683634FF 00000100
	ds_write_b32 v26, v20                                      // 000000002F84: D81A0000 0000141A
	ds_write_b32 v27, v21                                      // 000000002F8C: D81A0000 0000151B
	s_barrier                                                  // 000000002F94: BF8A0000
	v_lshrrev_b32_e32 v26, 4, v0                               // 000000002F98: 20340084
	v_and_b32_e64 v27, v26, 1                                  // 000000002F9C: D113001B 0001031A
	v_lshrrev_b32_e32 v28, 1, v26                              // 000000002FA4: 20383481
	v_lshlrev_b32_e32 v26, 1, v27                              // 000000002FA8: 24343681
	v_add_u32_e32 v26, v26, v28                                // 000000002FAC: 6834391A
	v_lshlrev_b32_e32 v26, 7, v26                              // 000000002FB0: 24343487
	v_and_b32_e64 v27, v0, 15                                  // 000000002FB4: D113001B 00011F00
	v_lshlrev_b32_e32 v27, 2, v27                              // 000000002FBC: 24363682
	v_add_u32_e32 v26, v27, v26                                // 000000002FC0: 6834351B
	v_add_u32_e64 v26, v26, s25                                // 000000002FC4: D134001A 0000331A
	v_add_u32_e32 v27, 64, v26                                 // 000000002FCC: 683634C0
	ds_read_b32 v20, v26                                       // 000000002FD0: D86C0000 1400001A
	ds_read_b32 v21, v27                                       // 000000002FD8: D86C0000 1500001B
	s_barrier                                                  // 000000002FE0: BF8A0000
	s_nop 1                                                    // 000000002FE4: BF800001
	s_mul_i32 s25, s11, 3                                      // 000000002FE8: 9219830B
	s_lshl_b32 s25, s25, 2                                     // 000000002FEC: 8E198219
	s_lshl_b32 s26, 0, 7                                       // 000000002FF0: 8E1A8780
	v_add_u32_e32 v7, s25, v6                                  // 000000002FF4: 680E0C19
	v_add_u32_e32 v7, s26, v7                                  // 000000002FF8: 680E0E1A
	buffer_store_dword v20, v7, s[16:19], 0 offen              // 000000002FFC: E0701000 80041407
	v_add_u32_e32 v7, s11, v7                                  // 000000003004: 680E0E0B
	buffer_store_dword v21, v7, s[16:19], 0 offen              // 000000003008: E0701000 80041507
	buffer_load_dwordx4 v[12:15], v5, s[12:15], 0 offen        // 000000003010: E05C1000 80030C05
	v_add_u32_e32 v5, 0x100, v5                                // 000000003018: 680A0AFF 00000100
	s_waitcnt vmcnt(0) expcnt(0) lgkmcnt(0)                    // 000000003020: BF8C0000
	s_barrier                                                  // 000000003024: BF8A0000
	v_cmp_u_f32_e64 s[36:37], v12, v12                         // 000000003028: D0480024 0002190C
	v_add3_u32 v29, v12, v32, 1                                // 000000003030: D1FF001D 0206410C
	v_cndmask_b32_e64 v26, v29, v31, s[36:37]                  // 000000003038: D100001A 00923F1D
	v_cmp_u_f32_e64 s[36:37], v13, v13                         // 000000003040: D0480024 00021B0D
	v_add3_u32 v29, v13, v32, 1                                // 000000003048: D1FF001D 0206410D
	v_cndmask_b32_e64 v27, v29, v31, s[36:37]                  // 000000003050: D100001B 00923F1D
	v_perm_b32 v22, v27, v26, s38                              // 000000003058: D1ED0016 009A351B
	v_cmp_u_f32_e64 s[36:37], v14, v14                         // 000000003060: D0480024 00021D0E
	v_add3_u32 v29, v14, v32, 1                                // 000000003068: D1FF001D 0206410E
	v_cndmask_b32_e64 v26, v29, v31, s[36:37]                  // 000000003070: D100001A 00923F1D
	v_cmp_u_f32_e64 s[36:37], v15, v15                         // 000000003078: D0480024 00021F0F
	v_add3_u32 v29, v15, v32, 1                                // 000000003080: D1FF001D 0206410F
	v_cndmask_b32_e64 v27, v29, v31, s[36:37]                  // 000000003088: D100001B 00923F1D
	v_perm_b32 v23, v27, v26, s38                              // 000000003090: D1ED0017 009A351B
	s_nop 1                                                    // 000000003098: BF800001
	s_mul_i32 s25, s24, 0x100                                  // 00000000309C: 9219FF18 00000100
	s_lshl_b32 s25, s25, 2                                     // 0000000030A4: 8E198219
	v_mov_b32_e32 v26, v0                                      // 0000000030A8: 7E340300
	v_lshlrev_b32_e32 v26, 2, v26                              // 0000000030AC: 24343482
	v_add_u32_e64 v26, v26, s25                                // 0000000030B0: D134001A 0000331A
	v_add_u32_e32 v27, 0x100, v26                              // 0000000030B8: 683634FF 00000100
	ds_write_b32 v26, v22                                      // 0000000030C0: D81A0000 0000161A
	ds_write_b32 v27, v23                                      // 0000000030C8: D81A0000 0000171B
	s_barrier                                                  // 0000000030D0: BF8A0000
	v_lshrrev_b32_e32 v26, 4, v0                               // 0000000030D4: 20340084
	v_and_b32_e64 v27, v26, 1                                  // 0000000030D8: D113001B 0001031A
	v_lshrrev_b32_e32 v28, 1, v26                              // 0000000030E0: 20383481
	v_lshlrev_b32_e32 v26, 1, v27                              // 0000000030E4: 24343681
	v_add_u32_e32 v26, v26, v28                                // 0000000030E8: 6834391A
	v_lshlrev_b32_e32 v26, 7, v26                              // 0000000030EC: 24343487
	v_and_b32_e64 v27, v0, 15                                  // 0000000030F0: D113001B 00011F00
	v_lshlrev_b32_e32 v27, 2, v27                              // 0000000030F8: 24363682
	v_add_u32_e32 v26, v27, v26                                // 0000000030FC: 6834351B
	v_add_u32_e64 v26, v26, s25                                // 000000003100: D134001A 0000331A
	v_add_u32_e32 v27, 64, v26                                 // 000000003108: 683634C0
	ds_read_b32 v22, v26                                       // 00000000310C: D86C0000 1600001A
	ds_read_b32 v23, v27                                       // 000000003114: D86C0000 1700001B
	s_barrier                                                  // 00000000311C: BF8A0000
	s_nop 1                                                    // 000000003120: BF800001
	s_mul_i32 s25, s11, 3                                      // 000000003124: 9219830B
	s_lshl_b32 s25, s25, 2                                     // 000000003128: 8E198219
	s_lshl_b32 s26, 1, 7                                       // 00000000312C: 8E1A8781
	v_add_u32_e32 v7, s25, v6                                  // 000000003130: 680E0C19
	v_add_u32_e32 v7, s26, v7                                  // 000000003134: 680E0E1A
	buffer_store_dword v22, v7, s[16:19], 0 offen              // 000000003138: E0701000 80041607
	v_add_u32_e32 v7, s11, v7                                  // 000000003140: 680E0E0B
	buffer_store_dword v23, v7, s[16:19], 0 offen              // 000000003144: E0701000 80041707
	v_mov_b32_e32 v16, 0                                       // 00000000314C: 7E200280
	v_mov_b32_e32 v17, 0                                       // 000000003150: 7E220280
	v_mov_b32_e32 v18, 0                                       // 000000003154: 7E240280
	v_mov_b32_e32 v19, 0                                       // 000000003158: 7E260280
	s_mov_b64 exec, s[30:31]                                   // 00000000315C: BEFE011E
	buffer_load_dwordx4 v[16:19], v5, s[12:15], 0 offen        // 000000003160: E05C1000 80031005
	s_mov_b64 exec, -1                                         // 000000003168: BEFE01C1
	v_add_u32_e32 v5, 0x100, v5                                // 00000000316C: 680A0AFF 00000100
	s_waitcnt vmcnt(0) expcnt(0) lgkmcnt(0)                    // 000000003174: BF8C0000
	s_barrier                                                  // 000000003178: BF8A0000
	v_cmp_u_f32_e64 s[36:37], v16, v16                         // 00000000317C: D0480024 00022110
	v_add3_u32 v29, v16, v32, 1                                // 000000003184: D1FF001D 02064110
	v_cndmask_b32_e64 v26, v29, v31, s[36:37]                  // 00000000318C: D100001A 00923F1D
	v_cmp_u_f32_e64 s[36:37], v17, v17                         // 000000003194: D0480024 00022311
	v_add3_u32 v29, v17, v32, 1                                // 00000000319C: D1FF001D 02064111
	v_cndmask_b32_e64 v27, v29, v31, s[36:37]                  // 0000000031A4: D100001B 00923F1D
	v_perm_b32 v24, v27, v26, s38                              // 0000000031AC: D1ED0018 009A351B
	v_cmp_u_f32_e64 s[36:37], v18, v18                         // 0000000031B4: D0480024 00022512
	v_add3_u32 v29, v18, v32, 1                                // 0000000031BC: D1FF001D 02064112
	v_cndmask_b32_e64 v26, v29, v31, s[36:37]                  // 0000000031C4: D100001A 00923F1D
	v_cmp_u_f32_e64 s[36:37], v19, v19                         // 0000000031CC: D0480024 00022713
	v_add3_u32 v29, v19, v32, 1                                // 0000000031D4: D1FF001D 02064113
	v_cndmask_b32_e64 v27, v29, v31, s[36:37]                  // 0000000031DC: D100001B 00923F1D
	v_perm_b32 v25, v27, v26, s38                              // 0000000031E4: D1ED0019 009A351B
	s_nop 1                                                    // 0000000031EC: BF800001
	s_mul_i32 s25, s24, 0x100                                  // 0000000031F0: 9219FF18 00000100
	s_lshl_b32 s25, s25, 2                                     // 0000000031F8: 8E198219
	v_mov_b32_e32 v26, v0                                      // 0000000031FC: 7E340300
	v_lshlrev_b32_e32 v26, 2, v26                              // 000000003200: 24343482
	v_add_u32_e64 v26, v26, s25                                // 000000003204: D134001A 0000331A
	v_add_u32_e32 v27, 0x100, v26                              // 00000000320C: 683634FF 00000100
	ds_write_b32 v26, v24                                      // 000000003214: D81A0000 0000181A
	ds_write_b32 v27, v25                                      // 00000000321C: D81A0000 0000191B
	s_barrier                                                  // 000000003224: BF8A0000
	v_lshrrev_b32_e32 v26, 4, v0                               // 000000003228: 20340084
	v_and_b32_e64 v27, v26, 1                                  // 00000000322C: D113001B 0001031A
	v_lshrrev_b32_e32 v28, 1, v26                              // 000000003234: 20383481
	v_lshlrev_b32_e32 v26, 1, v27                              // 000000003238: 24343681
	v_add_u32_e32 v26, v26, v28                                // 00000000323C: 6834391A
	v_lshlrev_b32_e32 v26, 7, v26                              // 000000003240: 24343487
	v_and_b32_e64 v27, v0, 15                                  // 000000003244: D113001B 00011F00
	v_lshlrev_b32_e32 v27, 2, v27                              // 00000000324C: 24363682
	v_add_u32_e32 v26, v27, v26                                // 000000003250: 6834351B
	v_add_u32_e64 v26, v26, s25                                // 000000003254: D134001A 0000331A
	v_add_u32_e32 v27, 64, v26                                 // 00000000325C: 683634C0
	ds_read_b32 v24, v26                                       // 000000003260: D86C0000 1800001A
	ds_read_b32 v25, v27                                       // 000000003268: D86C0000 1900001B
	s_barrier                                                  // 000000003270: BF8A0000
	s_nop 1                                                    // 000000003274: BF800001
	s_mul_i32 s25, s11, 3                                      // 000000003278: 9219830B
	s_lshl_b32 s25, s25, 2                                     // 00000000327C: 8E198219
	s_lshl_b32 s26, 2, 7                                       // 000000003280: 8E1A8782
	v_add_u32_e32 v7, s25, v6                                  // 000000003284: 680E0C19
	v_add_u32_e32 v7, s26, v7                                  // 000000003288: 680E0E1A
	s_mov_b64 exec, s[32:33]                                   // 00000000328C: BEFE0120
	buffer_store_dword v24, v7, s[16:19], 0 offen              // 000000003290: E0701000 80041807
	v_add_u32_e32 v7, s11, v7                                  // 000000003298: 680E0E0B
	buffer_store_dword v25, v7, s[16:19], 0 offen              // 00000000329C: E0701000 80041907
	s_mov_b64 exec, -1                                         // 0000000032A4: BEFE01C1
	s_waitcnt vmcnt(0) expcnt(0) lgkmcnt(0)                    // 0000000032A8: BF8C0000
	s_endpgm                                                   // 0000000032AC: BF810000
